;; amdgpu-corpus repo=zjin-lcf/HeCBench kind=compiled arch=gfx1250 opt=O3
	.amdgcn_target "amdgcn-amd-amdhsa--gfx1250"
	.amdhsa_code_object_version 6
	.section	.text._Z8findTopKIfLi2048ELi256ELi64EEvPiS0_PKT_fimm,"axG",@progbits,_Z8findTopKIfLi2048ELi256ELi64EEvPiS0_PKT_fimm,comdat
	.protected	_Z8findTopKIfLi2048ELi256ELi64EEvPiS0_PKT_fimm ; -- Begin function _Z8findTopKIfLi2048ELi256ELi64EEvPiS0_PKT_fimm
	.globl	_Z8findTopKIfLi2048ELi256ELi64EEvPiS0_PKT_fimm
	.p2align	8
	.type	_Z8findTopKIfLi2048ELi256ELi64EEvPiS0_PKT_fimm,@function
_Z8findTopKIfLi2048ELi256ELi64EEvPiS0_PKT_fimm: ; @_Z8findTopKIfLi2048ELi256ELi64EEvPiS0_PKT_fimm
; %bb.0:
	s_load_b256 s[8:15], s[0:1], 0x10
	s_bfe_u32 s3, ttmp6, 0x4000c
	s_bfe_u32 s4, ttmp6, 0x40010
	s_add_co_i32 s3, s3, 1
	s_add_co_i32 s4, s4, 1
	s_and_b32 s2, ttmp6, 15
	s_bfe_u32 s5, ttmp6, 0x40004
	s_mul_i32 s3, ttmp9, s3
	s_mul_i32 s4, ttmp7, s4
	s_getreg_b32 s6, hwreg(HW_REG_IB_STS2, 6, 4)
	v_dual_mov_b32 v1, 0 :: v_dual_lshlrev_b32 v8, 2, v0
	s_add_co_i32 s2, s2, s3
	s_add_co_i32 s5, s5, s4
	s_cmp_eq_u32 s6, 0
	s_mov_b32 s21, 0
	s_cselect_b32 s20, ttmp7, s5
	v_lshlrev_b32_e32 v2, 2, v0
	ds_store_2addr_stride64_b32 v8, v1, v1 offset1:4
	ds_store_2addr_stride64_b32 v8, v1, v1 offset0:8 offset1:12
	ds_store_2addr_stride64_b32 v8, v1, v1 offset0:16 offset1:20
	s_wait_kmcnt 0x0
	s_mul_u64 s[22:23], s[12:13], s[20:21]
	s_cselect_b32 s20, ttmp9, s2
	v_cmp_gt_u64_e64 s2, s[14:15], v[0:1]
	s_add_nc_u64 s[6:7], s[22:23], s[20:21]
	s_sub_f32 s24, 1.0, s10
	s_mul_u64 s[12:13], s[14:15], s[6:7]
	ds_store_2addr_stride64_b32 v8, v1, v1 offset0:24 offset1:28
	s_wait_dscnt 0x0
	s_barrier_signal -1
	s_barrier_wait -1
	s_and_saveexec_b32 s3, s2
	s_cbranch_execz .LBB0_6
; %bb.1:
	v_mov_b32_e32 v3, v1
	s_lshl_b64 s[4:5], s[12:13], 2
	v_mov_b64_e32 v[6:7], v[0:1]
	s_add_nc_u64 s[4:5], s[8:9], s[4:5]
	s_delay_alu instid0(VALU_DEP_2) | instid1(SALU_CYCLE_1)
	v_add_nc_u64_e32 v[4:5], s[4:5], v[2:3]
	v_mov_b32_e32 v3, 1
	s_mov_b32 s4, s21
	s_branch .LBB0_3
.LBB0_2:                                ;   in Loop: Header=BB0_3 Depth=1
	s_or_b32 exec_lo, exec_lo, s5
	v_add_nc_u64_e32 v[6:7], 0x100, v[6:7]
	v_add_nc_u64_e32 v[4:5], 0x400, v[4:5]
	s_delay_alu instid0(VALU_DEP_2) | instskip(SKIP_1) | instid1(SALU_CYCLE_1)
	v_cmp_le_u64_e32 vcc_lo, s[14:15], v[6:7]
	s_or_b32 s4, vcc_lo, s4
	s_and_not1_b32 exec_lo, exec_lo, s4
	s_cbranch_execz .LBB0_6
.LBB0_3:                                ; =>This Inner Loop Header: Depth=1
	global_load_b32 v9, v[4:5], off
	s_mov_b32 s5, exec_lo
	s_wait_loadcnt 0x0
	s_wait_xcnt 0x0
	v_cmpx_lt_f32_e32 s10, v9
	s_cbranch_execz .LBB0_2
; %bb.4:                                ;   in Loop: Header=BB0_3 Depth=1
	v_subrev_f32_e32 v9, s10, v9
	s_delay_alu instid0(VALU_DEP_1) | instskip(NEXT) | instid1(VALU_DEP_1)
	v_div_scale_f32 v10, null, s24, s24, v9
	v_rcp_f32_e32 v11, v10
	v_nop
	s_delay_alu instid0(TRANS32_DEP_1) | instskip(NEXT) | instid1(VALU_DEP_1)
	v_fma_f32 v12, -v10, v11, 1.0
	v_fmac_f32_e32 v11, v12, v11
	v_div_scale_f32 v12, vcc_lo, v9, s24, v9
	s_delay_alu instid0(VALU_DEP_1) | instskip(NEXT) | instid1(VALU_DEP_1)
	v_mul_f32_e32 v13, v12, v11
	v_fma_f32 v14, -v10, v13, v12
	s_delay_alu instid0(VALU_DEP_1) | instskip(NEXT) | instid1(VALU_DEP_1)
	v_fmac_f32_e32 v13, v14, v11
	v_fma_f32 v10, -v10, v13, v12
	s_delay_alu instid0(VALU_DEP_1) | instskip(NEXT) | instid1(VALU_DEP_1)
	v_div_fmas_f32 v10, v10, v11, v13
	v_div_fixup_f32 v9, v10, s24, v9
	s_delay_alu instid0(VALU_DEP_1) | instskip(NEXT) | instid1(VALU_DEP_1)
	v_mul_f32_e32 v9, 0x45000000, v9
	v_cvt_i32_f32_e32 v9, v9
	s_delay_alu instid0(VALU_DEP_1)
	v_cmp_lt_i32_e32 vcc_lo, 0, v9
	s_and_b32 exec_lo, exec_lo, vcc_lo
	s_cbranch_execz .LBB0_2
; %bb.5:                                ;   in Loop: Header=BB0_3 Depth=1
	v_min_u32_e32 v9, 0x7ff, v9
	s_delay_alu instid0(VALU_DEP_1)
	v_lshl_add_u32 v9, v9, 2, -4
	ds_add_u32 v9, v3
	s_branch .LBB0_2
.LBB0_6:
	s_or_b32 exec_lo, exec_lo, s3
	s_load_b128 s[16:19], s[0:1], 0x0
	s_mov_b32 s25, exec_lo
	s_wait_dscnt 0x0
	s_barrier_signal -1
	s_barrier_wait -1
	v_cmpx_gt_u32_e32 64, v0
	s_cbranch_execz .LBB0_9
; %bb.7:
	v_mbcnt_lo_u32_b32 v9, -1, 0
	v_mov_b32_e32 v3, 0
	s_wait_xcnt 0x0
	v_cmp_lt_u32_e64 s1, 59, v0
	v_cmp_lt_u32_e64 s3, 55, v0
	;; [unrolled: 1-line block ×3, first 2 shown]
	v_cmp_gt_u32_e64 s0, 30, v9
	v_cmp_ne_u32_e32 vcc_lo, 31, v9
	v_lshlrev_b32_e32 v4, 2, v9
	v_cmp_lt_u32_e64 s5, 31, v0
	v_mov_b32_e32 v11, 0
	v_cndmask_b32_e64 v6, 0, 2, s0
	v_cmp_gt_u32_e64 s0, 28, v9
	v_add_co_ci_u32_e64 v5, null, 0, v9, vcc_lo
	s_movk_i32 s26, 0x1c00
	v_add_lshl_u32 v6, v6, v9, 2
	v_cndmask_b32_e64 v7, 0, 4, s0
	v_cmp_gt_u32_e64 s0, 24, v9
	v_lshlrev_b32_e32 v5, 2, v5
	v_cmp_eq_u32_e32 vcc_lo, 63, v0
	s_delay_alu instid0(VALU_DEP_4) | instskip(NEXT) | instid1(VALU_DEP_4)
	v_add_lshl_u32 v7, v7, v9, 2
	v_cndmask_b32_e64 v10, 0, 8, s0
	v_cmp_lt_u32_e64 s0, 61, v0
	s_delay_alu instid0(VALU_DEP_2)
	v_add_lshl_u32 v9, v10, v9, 2
	v_or_b32_e32 v10, 64, v4
.LBB0_8:                                ; =>This Inner Loop Header: Depth=1
	v_add_nc_u32_e32 v16, s26, v8
	s_addk_co_i32 s26, 0xfc00
	ds_load_2addr_stride64_b32 v[12:13], v16 offset0:2 offset1:3
	ds_load_2addr_stride64_b32 v[14:15], v16 offset1:1
	s_cmp_lg_u32 s26, 0xfffffc00
	s_wait_dscnt 0x1
	ds_bpermute_b32 v17, v5, v13
	ds_bpermute_b32 v18, v5, v12
	s_wait_dscnt 0x2
	ds_bpermute_b32 v19, v5, v15
	ds_bpermute_b32 v20, v5, v14
	s_wait_dscnt 0x3
	v_cndmask_b32_e64 v17, v17, 0, vcc_lo
	s_wait_dscnt 0x2
	v_cndmask_b32_e64 v18, v18, 0, vcc_lo
	;; [unrolled: 2-line block ×4, first 2 shown]
	s_delay_alu instid0(VALU_DEP_1)
	v_dual_add_nc_u32 v13, v17, v13 :: v_dual_add_nc_u32 v14, v20, v14
	ds_bpermute_b32 v17, v6, v13
	ds_bpermute_b32 v20, v6, v14
	s_wait_dscnt 0x1
	v_cndmask_b32_e64 v17, v17, 0, s0
	v_add_nc_u32_e32 v12, v18, v12
	s_wait_dscnt 0x0
	v_cndmask_b32_e64 v20, v20, 0, s0
	s_delay_alu instid0(VALU_DEP_3)
	v_add_nc_u32_e32 v13, v17, v13
	ds_bpermute_b32 v18, v6, v12
	v_add_nc_u32_e32 v14, v20, v14
	ds_bpermute_b32 v17, v7, v13
	ds_bpermute_b32 v20, v7, v14
	s_wait_dscnt 0x2
	v_cndmask_b32_e64 v18, v18, 0, s0
	v_add_nc_u32_e32 v15, v19, v15
	s_wait_dscnt 0x1
	v_cndmask_b32_e64 v17, v17, 0, s1
	s_delay_alu instid0(VALU_DEP_3)
	v_add_nc_u32_e32 v12, v18, v12
	ds_bpermute_b32 v19, v6, v15
	s_wait_dscnt 0x1
	v_cndmask_b32_e64 v20, v20, 0, s1
	v_add_nc_u32_e32 v13, v17, v13
	ds_bpermute_b32 v18, v7, v12
	v_add_nc_u32_e32 v14, v20, v14
	ds_bpermute_b32 v17, v9, v13
	ds_bpermute_b32 v20, v9, v14
	s_wait_dscnt 0x3
	v_cndmask_b32_e64 v19, v19, 0, s0
	s_wait_dscnt 0x2
	v_cndmask_b32_e64 v18, v18, 0, s1
	s_delay_alu instid0(VALU_DEP_2) | instskip(SKIP_2) | instid1(VALU_DEP_3)
	v_add_nc_u32_e32 v15, v19, v15
	s_wait_dscnt 0x1
	v_cndmask_b32_e64 v17, v17, 0, s3
	v_add_nc_u32_e32 v12, v18, v12
	ds_bpermute_b32 v19, v7, v15
	v_add_nc_u32_e32 v13, v17, v13
	ds_bpermute_b32 v18, v9, v12
	ds_bpermute_b32 v17, v10, v13
	s_wait_dscnt 0x2
	v_cndmask_b32_e64 v19, v19, 0, s1
	s_wait_dscnt 0x1
	v_cndmask_b32_e64 v18, v18, 0, s3
	s_delay_alu instid0(VALU_DEP_2) | instskip(SKIP_2) | instid1(VALU_DEP_3)
	v_add_nc_u32_e32 v15, v19, v15
	;; [unrolled: 13-line block ×3, first 2 shown]
	s_wait_dscnt 0x0
	v_cndmask_b32_e64 v17, v17, 0, s5
	v_add_nc_u32_e32 v12, v18, v12
	ds_bpermute_b32 v19, v10, v15
	v_add3_u32 v13, v17, v13, v11
	ds_bpermute_b32 v18, v4, v12
	v_cndmask_b32_e64 v17, v20, 0, s3
	ds_bpermute_b32 v11, v3, v13
	v_add_nc_u32_e32 v14, v17, v14
	s_wait_dscnt 0x2
	v_cndmask_b32_e64 v17, v19, 0, s4
	s_delay_alu instid0(VALU_DEP_1)
	v_add_nc_u32_e32 v15, v17, v15
	ds_bpermute_b32 v19, v10, v14
	s_wait_dscnt 0x2
	v_cndmask_b32_e64 v17, v18, 0, s5
	ds_bpermute_b32 v18, v4, v15
	s_wait_dscnt 0x2
	v_add3_u32 v12, v17, v12, v11
	ds_bpermute_b32 v11, v3, v12
	s_wait_dscnt 0x2
	v_cndmask_b32_e64 v17, v19, 0, s4
	s_delay_alu instid0(VALU_DEP_1)
	v_add_nc_u32_e32 v14, v17, v14
	s_wait_dscnt 0x1
	v_cndmask_b32_e64 v17, v18, 0, s5
	ds_bpermute_b32 v18, v4, v14
	s_wait_dscnt 0x1
	v_add3_u32 v15, v17, v15, v11
	ds_bpermute_b32 v11, v3, v15
	s_wait_dscnt 0x1
	v_cndmask_b32_e64 v17, v18, 0, s5
	s_wait_dscnt 0x0
	s_delay_alu instid0(VALU_DEP_1)
	v_add3_u32 v14, v17, v14, v11
	ds_store_2addr_stride64_b32 v16, v12, v13 offset0:2 offset1:3
	ds_store_2addr_stride64_b32 v16, v14, v15 offset1:1
	ds_bpermute_b32 v11, v3, v14
	s_cbranch_scc1 .LBB0_8
.LBB0_9:
	s_or_b32 exec_lo, exec_lo, s25
	s_wait_xcnt 0x0
	s_lshl_b64 s[0:1], s[22:23], 2
	s_lshl_b64 s[4:5], s[20:21], 2
	s_wait_kmcnt 0x0
	s_add_nc_u64 s[0:1], s[18:19], s[0:1]
	s_mov_b32 s3, exec_lo
	s_add_nc_u64 s[0:1], s[0:1], s[4:5]
	v_cmpx_eq_u32_e32 0, v0
	s_cbranch_execz .LBB0_11
; %bb.10:
	v_mov_b32_e32 v3, 0
	global_store_b32 v3, v3, s[0:1]
.LBB0_11:
	s_wait_xcnt 0x0
	s_or_b32 exec_lo, exec_lo, s3
	s_wait_storecnt_dscnt 0x0
	s_barrier_signal -1
	s_barrier_wait -1
	s_and_saveexec_b32 s3, s2
	s_cbranch_execz .LBB0_18
; %bb.12:
	v_mov_b32_e32 v3, 0
	s_lshl_b64 s[4:5], s[12:13], 2
	s_ashr_i32 s3, s11, 31
	s_add_nc_u64 s[4:5], s[8:9], s[4:5]
	s_mov_b32 s2, s11
	v_add_nc_u64_e32 v[4:5], s[4:5], v[2:3]
	s_mul_u64 s[2:3], s[6:7], s[2:3]
	v_mov_b32_e32 v2, 1
	s_lshl_b64 s[2:3], s[2:3], 2
	s_mov_b32 s4, 0
	s_add_nc_u64 s[2:3], s[16:17], s[2:3]
	s_branch .LBB0_14
.LBB0_13:                               ;   in Loop: Header=BB0_14 Depth=1
	s_wait_xcnt 0x0
	s_or_b32 exec_lo, exec_lo, s5
	v_add_nc_u64_e32 v[0:1], 0x100, v[0:1]
	v_add_nc_u64_e32 v[4:5], 0x400, v[4:5]
	s_delay_alu instid0(VALU_DEP_2) | instskip(SKIP_1) | instid1(SALU_CYCLE_1)
	v_cmp_le_u64_e32 vcc_lo, s[14:15], v[0:1]
	s_or_b32 s4, vcc_lo, s4
	s_and_not1_b32 exec_lo, exec_lo, s4
	s_cbranch_execz .LBB0_18
.LBB0_14:                               ; =>This Inner Loop Header: Depth=1
	global_load_b32 v6, v[4:5], off
	s_mov_b32 s5, exec_lo
	s_wait_loadcnt 0x0
	s_wait_xcnt 0x0
	v_cmpx_lt_f32_e32 s10, v6
	s_cbranch_execz .LBB0_13
; %bb.15:                               ;   in Loop: Header=BB0_14 Depth=1
	v_subrev_f32_e32 v6, s10, v6
	s_delay_alu instid0(VALU_DEP_1) | instskip(NEXT) | instid1(VALU_DEP_1)
	v_div_scale_f32 v7, null, s24, s24, v6
	v_rcp_f32_e32 v8, v7
	v_nop
	s_delay_alu instid0(TRANS32_DEP_1) | instskip(NEXT) | instid1(VALU_DEP_1)
	v_fma_f32 v9, -v7, v8, 1.0
	v_fmac_f32_e32 v8, v9, v8
	v_div_scale_f32 v9, vcc_lo, v6, s24, v6
	s_delay_alu instid0(VALU_DEP_1) | instskip(NEXT) | instid1(VALU_DEP_1)
	v_mul_f32_e32 v10, v9, v8
	v_fma_f32 v11, -v7, v10, v9
	s_delay_alu instid0(VALU_DEP_1) | instskip(NEXT) | instid1(VALU_DEP_1)
	v_fmac_f32_e32 v10, v11, v8
	v_fma_f32 v7, -v7, v10, v9
	s_delay_alu instid0(VALU_DEP_1) | instskip(NEXT) | instid1(VALU_DEP_1)
	v_div_fmas_f32 v7, v7, v8, v10
	v_div_fixup_f32 v6, v7, s24, v6
	s_delay_alu instid0(VALU_DEP_1) | instskip(NEXT) | instid1(VALU_DEP_1)
	v_mul_f32_e32 v6, 0x45000000, v6
	v_cvt_i32_f32_e32 v6, v6
	s_delay_alu instid0(VALU_DEP_1) | instskip(NEXT) | instid1(VALU_DEP_1)
	v_med3_i32 v6, v6, 0, 0x7ff
	v_lshlrev_b32_e32 v6, 2, v6
	ds_add_rtn_u32 v6, v6, v2
	s_wait_dscnt 0x0
	v_cmp_gt_i32_e32 vcc_lo, s11, v6
	s_and_b32 exec_lo, exec_lo, vcc_lo
	s_cbranch_execz .LBB0_13
; %bb.16:                               ;   in Loop: Header=BB0_14 Depth=1
	s_mov_b32 s6, exec_lo
	global_store_b32 v6, v0, s[2:3] scale_offset
	v_mbcnt_lo_u32_b32 v7, s6, 0
	s_delay_alu instid0(VALU_DEP_1)
	v_cmp_eq_u32_e32 vcc_lo, 0, v7
	s_and_b32 s7, exec_lo, vcc_lo
	s_wait_xcnt 0x0
	s_mov_b32 exec_lo, s7
	s_cbranch_execz .LBB0_13
; %bb.17:                               ;   in Loop: Header=BB0_14 Depth=1
	s_bcnt1_i32_b32 s6, s6
	s_delay_alu instid0(SALU_CYCLE_1)
	v_mov_b32_e32 v6, s6
	global_atomic_add_u32 v3, v6, s[0:1] scope:SCOPE_DEV
	s_branch .LBB0_13
.LBB0_18:
	s_endpgm
	.section	.rodata,"a",@progbits
	.p2align	6, 0x0
	.amdhsa_kernel _Z8findTopKIfLi2048ELi256ELi64EEvPiS0_PKT_fimm
		.amdhsa_group_segment_fixed_size 8192
		.amdhsa_private_segment_fixed_size 0
		.amdhsa_kernarg_size 48
		.amdhsa_user_sgpr_count 2
		.amdhsa_user_sgpr_dispatch_ptr 0
		.amdhsa_user_sgpr_queue_ptr 0
		.amdhsa_user_sgpr_kernarg_segment_ptr 1
		.amdhsa_user_sgpr_dispatch_id 0
		.amdhsa_user_sgpr_kernarg_preload_length 0
		.amdhsa_user_sgpr_kernarg_preload_offset 0
		.amdhsa_user_sgpr_private_segment_size 0
		.amdhsa_wavefront_size32 1
		.amdhsa_uses_dynamic_stack 0
		.amdhsa_enable_private_segment 0
		.amdhsa_system_sgpr_workgroup_id_x 1
		.amdhsa_system_sgpr_workgroup_id_y 1
		.amdhsa_system_sgpr_workgroup_id_z 0
		.amdhsa_system_sgpr_workgroup_info 0
		.amdhsa_system_vgpr_workitem_id 0
		.amdhsa_next_free_vgpr 21
		.amdhsa_next_free_sgpr 27
		.amdhsa_named_barrier_count 0
		.amdhsa_reserve_vcc 1
		.amdhsa_float_round_mode_32 0
		.amdhsa_float_round_mode_16_64 0
		.amdhsa_float_denorm_mode_32 3
		.amdhsa_float_denorm_mode_16_64 3
		.amdhsa_fp16_overflow 0
		.amdhsa_memory_ordered 1
		.amdhsa_forward_progress 1
		.amdhsa_inst_pref_size 15
		.amdhsa_round_robin_scheduling 0
		.amdhsa_exception_fp_ieee_invalid_op 0
		.amdhsa_exception_fp_denorm_src 0
		.amdhsa_exception_fp_ieee_div_zero 0
		.amdhsa_exception_fp_ieee_overflow 0
		.amdhsa_exception_fp_ieee_underflow 0
		.amdhsa_exception_fp_ieee_inexact 0
		.amdhsa_exception_int_div_zero 0
	.end_amdhsa_kernel
	.section	.text._Z8findTopKIfLi2048ELi256ELi64EEvPiS0_PKT_fimm,"axG",@progbits,_Z8findTopKIfLi2048ELi256ELi64EEvPiS0_PKT_fimm,comdat
.Lfunc_end0:
	.size	_Z8findTopKIfLi2048ELi256ELi64EEvPiS0_PKT_fimm, .Lfunc_end0-_Z8findTopKIfLi2048ELi256ELi64EEvPiS0_PKT_fimm
                                        ; -- End function
	.set _Z8findTopKIfLi2048ELi256ELi64EEvPiS0_PKT_fimm.num_vgpr, 21
	.set _Z8findTopKIfLi2048ELi256ELi64EEvPiS0_PKT_fimm.num_agpr, 0
	.set _Z8findTopKIfLi2048ELi256ELi64EEvPiS0_PKT_fimm.numbered_sgpr, 27
	.set _Z8findTopKIfLi2048ELi256ELi64EEvPiS0_PKT_fimm.num_named_barrier, 0
	.set _Z8findTopKIfLi2048ELi256ELi64EEvPiS0_PKT_fimm.private_seg_size, 0
	.set _Z8findTopKIfLi2048ELi256ELi64EEvPiS0_PKT_fimm.uses_vcc, 1
	.set _Z8findTopKIfLi2048ELi256ELi64EEvPiS0_PKT_fimm.uses_flat_scratch, 0
	.set _Z8findTopKIfLi2048ELi256ELi64EEvPiS0_PKT_fimm.has_dyn_sized_stack, 0
	.set _Z8findTopKIfLi2048ELi256ELi64EEvPiS0_PKT_fimm.has_recursion, 0
	.set _Z8findTopKIfLi2048ELi256ELi64EEvPiS0_PKT_fimm.has_indirect_call, 0
	.section	.AMDGPU.csdata,"",@progbits
; Kernel info:
; codeLenInByte = 1832
; TotalNumSgprs: 29
; NumVgprs: 21
; ScratchSize: 0
; MemoryBound: 0
; FloatMode: 240
; IeeeMode: 1
; LDSByteSize: 8192 bytes/workgroup (compile time only)
; SGPRBlocks: 0
; VGPRBlocks: 1
; NumSGPRsForWavesPerEU: 29
; NumVGPRsForWavesPerEU: 21
; NamedBarCnt: 0
; Occupancy: 16
; WaveLimiterHint : 0
; COMPUTE_PGM_RSRC2:SCRATCH_EN: 0
; COMPUTE_PGM_RSRC2:USER_SGPR: 2
; COMPUTE_PGM_RSRC2:TRAP_HANDLER: 0
; COMPUTE_PGM_RSRC2:TGID_X_EN: 1
; COMPUTE_PGM_RSRC2:TGID_Y_EN: 1
; COMPUTE_PGM_RSRC2:TGID_Z_EN: 0
; COMPUTE_PGM_RSRC2:TIDIG_COMP_CNT: 0
	.section	.text._Z8findTopKIfLi2048ELi256ELi32EEvPiS0_PKT_fimm,"axG",@progbits,_Z8findTopKIfLi2048ELi256ELi32EEvPiS0_PKT_fimm,comdat
	.protected	_Z8findTopKIfLi2048ELi256ELi32EEvPiS0_PKT_fimm ; -- Begin function _Z8findTopKIfLi2048ELi256ELi32EEvPiS0_PKT_fimm
	.globl	_Z8findTopKIfLi2048ELi256ELi32EEvPiS0_PKT_fimm
	.p2align	8
	.type	_Z8findTopKIfLi2048ELi256ELi32EEvPiS0_PKT_fimm,@function
_Z8findTopKIfLi2048ELi256ELi32EEvPiS0_PKT_fimm: ; @_Z8findTopKIfLi2048ELi256ELi32EEvPiS0_PKT_fimm
; %bb.0:
	s_load_b256 s[8:15], s[0:1], 0x10
	s_bfe_u32 s3, ttmp6, 0x4000c
	s_bfe_u32 s4, ttmp6, 0x40010
	s_add_co_i32 s3, s3, 1
	s_add_co_i32 s4, s4, 1
	s_and_b32 s2, ttmp6, 15
	s_bfe_u32 s5, ttmp6, 0x40004
	s_mul_i32 s3, ttmp9, s3
	s_mul_i32 s4, ttmp7, s4
	s_getreg_b32 s6, hwreg(HW_REG_IB_STS2, 6, 4)
	v_dual_mov_b32 v1, 0 :: v_dual_lshlrev_b32 v8, 2, v0
	s_add_co_i32 s2, s2, s3
	s_add_co_i32 s5, s5, s4
	s_cmp_eq_u32 s6, 0
	s_mov_b32 s21, 0
	s_cselect_b32 s20, ttmp7, s5
	v_lshlrev_b32_e32 v2, 2, v0
	ds_store_2addr_stride64_b32 v8, v1, v1 offset1:4
	ds_store_2addr_stride64_b32 v8, v1, v1 offset0:8 offset1:12
	ds_store_2addr_stride64_b32 v8, v1, v1 offset0:16 offset1:20
	s_wait_kmcnt 0x0
	s_mul_u64 s[22:23], s[12:13], s[20:21]
	s_cselect_b32 s20, ttmp9, s2
	v_cmp_gt_u64_e64 s2, s[14:15], v[0:1]
	s_add_nc_u64 s[6:7], s[22:23], s[20:21]
	s_sub_f32 s5, 1.0, s10
	s_mul_u64 s[12:13], s[14:15], s[6:7]
	ds_store_2addr_stride64_b32 v8, v1, v1 offset0:24 offset1:28
	s_wait_dscnt 0x0
	s_barrier_signal -1
	s_barrier_wait -1
	s_and_saveexec_b32 s3, s2
	s_cbranch_execz .LBB1_6
; %bb.1:
	v_mov_b32_e32 v3, v1
	s_lshl_b64 s[16:17], s[12:13], 2
	v_mov_b64_e32 v[6:7], v[0:1]
	s_add_nc_u64 s[16:17], s[8:9], s[16:17]
	s_mov_b32 s4, s21
	v_add_nc_u64_e32 v[4:5], s[16:17], v[2:3]
	v_mov_b32_e32 v3, 1
	s_branch .LBB1_3
.LBB1_2:                                ;   in Loop: Header=BB1_3 Depth=1
	s_or_b32 exec_lo, exec_lo, s16
	v_add_nc_u64_e32 v[6:7], 0x100, v[6:7]
	v_add_nc_u64_e32 v[4:5], 0x400, v[4:5]
	s_delay_alu instid0(VALU_DEP_2) | instskip(SKIP_1) | instid1(SALU_CYCLE_1)
	v_cmp_le_u64_e32 vcc_lo, s[14:15], v[6:7]
	s_or_b32 s4, vcc_lo, s4
	s_and_not1_b32 exec_lo, exec_lo, s4
	s_cbranch_execz .LBB1_6
.LBB1_3:                                ; =>This Inner Loop Header: Depth=1
	global_load_b32 v9, v[4:5], off
	s_mov_b32 s16, exec_lo
	s_wait_loadcnt 0x0
	s_wait_xcnt 0x0
	v_cmpx_lt_f32_e32 s10, v9
	s_cbranch_execz .LBB1_2
; %bb.4:                                ;   in Loop: Header=BB1_3 Depth=1
	v_subrev_f32_e32 v9, s10, v9
	s_delay_alu instid0(VALU_DEP_1) | instskip(NEXT) | instid1(VALU_DEP_1)
	v_div_scale_f32 v10, null, s5, s5, v9
	v_rcp_f32_e32 v11, v10
	v_nop
	s_delay_alu instid0(TRANS32_DEP_1) | instskip(NEXT) | instid1(VALU_DEP_1)
	v_fma_f32 v12, -v10, v11, 1.0
	v_fmac_f32_e32 v11, v12, v11
	v_div_scale_f32 v12, vcc_lo, v9, s5, v9
	s_delay_alu instid0(VALU_DEP_1) | instskip(NEXT) | instid1(VALU_DEP_1)
	v_mul_f32_e32 v13, v12, v11
	v_fma_f32 v14, -v10, v13, v12
	s_delay_alu instid0(VALU_DEP_1) | instskip(NEXT) | instid1(VALU_DEP_1)
	v_fmac_f32_e32 v13, v14, v11
	v_fma_f32 v10, -v10, v13, v12
	s_delay_alu instid0(VALU_DEP_1) | instskip(NEXT) | instid1(VALU_DEP_1)
	v_div_fmas_f32 v10, v10, v11, v13
	v_div_fixup_f32 v9, v10, s5, v9
	s_delay_alu instid0(VALU_DEP_1) | instskip(NEXT) | instid1(VALU_DEP_1)
	v_mul_f32_e32 v9, 0x45000000, v9
	v_cvt_i32_f32_e32 v9, v9
	s_delay_alu instid0(VALU_DEP_1)
	v_cmp_lt_i32_e32 vcc_lo, 0, v9
	s_and_b32 exec_lo, exec_lo, vcc_lo
	s_cbranch_execz .LBB1_2
; %bb.5:                                ;   in Loop: Header=BB1_3 Depth=1
	v_min_u32_e32 v9, 0x7ff, v9
	s_delay_alu instid0(VALU_DEP_1)
	v_lshl_add_u32 v9, v9, 2, -4
	ds_add_u32 v9, v3
	s_branch .LBB1_2
.LBB1_6:
	s_or_b32 exec_lo, exec_lo, s3
	s_load_b128 s[16:19], s[0:1], 0x0
	s_mov_b32 s24, exec_lo
	s_wait_dscnt 0x0
	s_barrier_signal -1
	s_barrier_wait -1
	v_cmpx_gt_u32_e32 32, v0
	s_cbranch_execz .LBB1_9
; %bb.7:
	v_mbcnt_lo_u32_b32 v9, -1, 0
	s_wait_xcnt 0x0
	v_cmp_lt_u32_e64 s1, 27, v0
	v_cmp_lt_u32_e64 s3, 23, v0
	;; [unrolled: 1-line block ×3, first 2 shown]
	v_mov_b32_e32 v10, 0
	v_cmp_ne_u32_e64 s0, 31, v9
	s_movk_i32 s25, 0x1e00
	v_cmp_eq_u32_e32 vcc_lo, 31, v0
	v_add_co_ci_u32_e64 v4, null, 0, v9, s0
	v_cmp_gt_u32_e64 s0, 30, v9
	s_delay_alu instid0(VALU_DEP_2) | instskip(NEXT) | instid1(VALU_DEP_2)
	v_dual_mov_b32 v3, 0 :: v_dual_lshlrev_b32 v4, 2, v4
	v_cndmask_b32_e64 v5, 0, 2, s0
	v_cmp_gt_u32_e64 s0, 28, v9
	s_delay_alu instid0(VALU_DEP_2) | instskip(NEXT) | instid1(VALU_DEP_2)
	v_add_lshl_u32 v5, v5, v9, 2
	v_cndmask_b32_e64 v6, 0, 4, s0
	v_cmp_gt_u32_e64 s0, 24, v9
	s_delay_alu instid0(VALU_DEP_2) | instskip(NEXT) | instid1(VALU_DEP_2)
	v_add_lshl_u32 v6, v6, v9, 2
	v_cndmask_b32_e64 v7, 0, 8, s0
	v_cmp_lt_u32_e64 s0, 29, v0
	s_delay_alu instid0(VALU_DEP_2)
	v_add_lshl_u32 v7, v7, v9, 2
	v_lshl_or_b32 v9, v9, 2, 64
.LBB1_8:                                ; =>This Inner Loop Header: Depth=1
	v_add_nc_u32_e32 v11, s25, v8
	s_addk_co_i32 s25, 0xfe00
	s_delay_alu instid0(SALU_CYCLE_1)
	s_cmp_lg_u32 s25, 0xfffffe00
	ds_load_2addr_b32 v[12:13], v11 offset0:64 offset1:96
	s_wait_dscnt 0x0
	ds_bpermute_b32 v14, v4, v13
	ds_bpermute_b32 v16, v4, v12
	s_wait_dscnt 0x1
	v_cndmask_b32_e64 v14, v14, 0, vcc_lo
	s_wait_dscnt 0x0
	v_cndmask_b32_e64 v16, v16, 0, vcc_lo
	s_delay_alu instid0(VALU_DEP_2)
	v_add_nc_u32_e32 v13, v14, v13
	ds_load_2addr_b32 v[14:15], v11 offset1:32
	v_add_nc_u32_e32 v12, v16, v12
	ds_bpermute_b32 v17, v5, v13
	s_wait_dscnt 0x1
	ds_bpermute_b32 v18, v4, v15
	ds_bpermute_b32 v19, v4, v14
	s_wait_dscnt 0x2
	v_cndmask_b32_e64 v16, v17, 0, s0
	s_delay_alu instid0(VALU_DEP_1)
	v_add_nc_u32_e32 v13, v16, v13
	ds_bpermute_b32 v17, v5, v12
	ds_bpermute_b32 v16, v6, v13
	s_wait_dscnt 0x3
	v_cndmask_b32_e64 v18, v18, 0, vcc_lo
	s_wait_dscnt 0x2
	v_cndmask_b32_e64 v19, v19, 0, vcc_lo
	s_delay_alu instid0(VALU_DEP_1)
	v_add_nc_u32_e32 v14, v19, v14
	s_wait_dscnt 0x1
	v_cndmask_b32_e64 v17, v17, 0, s0
	v_add_nc_u32_e32 v15, v18, v15
	ds_bpermute_b32 v19, v5, v14
	s_wait_dscnt 0x1
	v_cndmask_b32_e64 v16, v16, 0, s1
	v_add_nc_u32_e32 v12, v17, v12
	ds_bpermute_b32 v18, v5, v15
	v_add_nc_u32_e32 v13, v16, v13
	ds_bpermute_b32 v17, v6, v12
	ds_bpermute_b32 v16, v7, v13
	s_wait_dscnt 0x3
	v_cndmask_b32_e64 v19, v19, 0, s0
	s_wait_dscnt 0x2
	v_cndmask_b32_e64 v18, v18, 0, s0
	s_delay_alu instid0(VALU_DEP_2) | instskip(SKIP_2) | instid1(VALU_DEP_3)
	v_add_nc_u32_e32 v14, v19, v14
	s_wait_dscnt 0x1
	v_cndmask_b32_e64 v17, v17, 0, s1
	v_add_nc_u32_e32 v15, v18, v15
	ds_bpermute_b32 v19, v6, v14
	s_wait_dscnt 0x1
	v_cndmask_b32_e64 v16, v16, 0, s3
	v_add_nc_u32_e32 v12, v17, v12
	ds_bpermute_b32 v18, v6, v15
	v_add_nc_u32_e32 v13, v16, v13
	ds_bpermute_b32 v17, v7, v12
	ds_bpermute_b32 v16, v9, v13
	s_wait_dscnt 0x2
	v_cndmask_b32_e64 v18, v18, 0, s1
	s_wait_dscnt 0x1
	v_cndmask_b32_e64 v17, v17, 0, s3
	s_delay_alu instid0(VALU_DEP_2) | instskip(SKIP_2) | instid1(VALU_DEP_3)
	v_add_nc_u32_e32 v15, v18, v15
	s_wait_dscnt 0x0
	v_cndmask_b32_e64 v16, v16, 0, s4
	v_add_nc_u32_e32 v12, v17, v12
	ds_bpermute_b32 v18, v7, v15
	v_add3_u32 v13, v16, v13, v10
	ds_bpermute_b32 v17, v9, v12
	v_cndmask_b32_e64 v16, v19, 0, s1
	ds_bpermute_b32 v10, v3, v13
	v_add_nc_u32_e32 v14, v16, v14
	s_wait_dscnt 0x2
	v_cndmask_b32_e64 v16, v18, 0, s3
	s_delay_alu instid0(VALU_DEP_1)
	v_add_nc_u32_e32 v15, v16, v15
	ds_bpermute_b32 v18, v7, v14
	s_wait_dscnt 0x2
	v_cndmask_b32_e64 v16, v17, 0, s4
	ds_bpermute_b32 v17, v9, v15
	s_wait_dscnt 0x2
	v_add3_u32 v12, v16, v12, v10
	ds_bpermute_b32 v10, v3, v12
	s_wait_dscnt 0x2
	v_cndmask_b32_e64 v16, v18, 0, s3
	s_delay_alu instid0(VALU_DEP_1)
	v_add_nc_u32_e32 v14, v16, v14
	s_wait_dscnt 0x1
	v_cndmask_b32_e64 v16, v17, 0, s4
	ds_bpermute_b32 v17, v9, v14
	s_wait_dscnt 0x1
	v_add3_u32 v15, v16, v15, v10
	ds_bpermute_b32 v10, v3, v15
	s_wait_dscnt 0x1
	v_cndmask_b32_e64 v16, v17, 0, s4
	s_wait_dscnt 0x0
	s_delay_alu instid0(VALU_DEP_1)
	v_add3_u32 v14, v16, v14, v10
	ds_store_2addr_b32 v11, v12, v13 offset0:64 offset1:96
	ds_store_2addr_b32 v11, v14, v15 offset1:32
	ds_bpermute_b32 v10, v3, v14
	s_cbranch_scc1 .LBB1_8
.LBB1_9:
	s_or_b32 exec_lo, exec_lo, s24
	s_wait_xcnt 0x0
	s_lshl_b64 s[0:1], s[22:23], 2
	s_mov_b32 s3, exec_lo
	s_wait_kmcnt 0x0
	s_add_nc_u64 s[0:1], s[18:19], s[0:1]
	s_lshl_b64 s[18:19], s[20:21], 2
	s_delay_alu instid0(SALU_CYCLE_1)
	s_add_nc_u64 s[0:1], s[0:1], s[18:19]
	v_cmpx_eq_u32_e32 0, v0
	s_cbranch_execz .LBB1_11
; %bb.10:
	v_mov_b32_e32 v3, 0
	global_store_b32 v3, v3, s[0:1]
.LBB1_11:
	s_wait_xcnt 0x0
	s_or_b32 exec_lo, exec_lo, s3
	s_wait_storecnt_dscnt 0x0
	s_barrier_signal -1
	s_barrier_wait -1
	s_and_saveexec_b32 s3, s2
	s_cbranch_execz .LBB1_18
; %bb.12:
	v_mov_b32_e32 v3, 0
	s_lshl_b64 s[12:13], s[12:13], 2
	s_ashr_i32 s3, s11, 31
	s_add_nc_u64 s[8:9], s[8:9], s[12:13]
	s_mov_b32 s2, s11
	v_add_nc_u64_e32 v[4:5], s[8:9], v[2:3]
	s_mul_u64 s[2:3], s[6:7], s[2:3]
	v_mov_b32_e32 v2, 1
	s_lshl_b64 s[2:3], s[2:3], 2
	s_mov_b32 s4, 0
	s_add_nc_u64 s[2:3], s[16:17], s[2:3]
	s_branch .LBB1_14
.LBB1_13:                               ;   in Loop: Header=BB1_14 Depth=1
	s_wait_xcnt 0x0
	s_or_b32 exec_lo, exec_lo, s6
	v_add_nc_u64_e32 v[0:1], 0x100, v[0:1]
	v_add_nc_u64_e32 v[4:5], 0x400, v[4:5]
	s_delay_alu instid0(VALU_DEP_2) | instskip(SKIP_1) | instid1(SALU_CYCLE_1)
	v_cmp_le_u64_e32 vcc_lo, s[14:15], v[0:1]
	s_or_b32 s4, vcc_lo, s4
	s_and_not1_b32 exec_lo, exec_lo, s4
	s_cbranch_execz .LBB1_18
.LBB1_14:                               ; =>This Inner Loop Header: Depth=1
	global_load_b32 v6, v[4:5], off
	s_mov_b32 s6, exec_lo
	s_wait_loadcnt 0x0
	s_wait_xcnt 0x0
	v_cmpx_lt_f32_e32 s10, v6
	s_cbranch_execz .LBB1_13
; %bb.15:                               ;   in Loop: Header=BB1_14 Depth=1
	v_subrev_f32_e32 v6, s10, v6
	s_delay_alu instid0(VALU_DEP_1) | instskip(NEXT) | instid1(VALU_DEP_1)
	v_div_scale_f32 v7, null, s5, s5, v6
	v_rcp_f32_e32 v8, v7
	v_nop
	s_delay_alu instid0(TRANS32_DEP_1) | instskip(NEXT) | instid1(VALU_DEP_1)
	v_fma_f32 v9, -v7, v8, 1.0
	v_fmac_f32_e32 v8, v9, v8
	v_div_scale_f32 v9, vcc_lo, v6, s5, v6
	s_delay_alu instid0(VALU_DEP_1) | instskip(NEXT) | instid1(VALU_DEP_1)
	v_mul_f32_e32 v10, v9, v8
	v_fma_f32 v11, -v7, v10, v9
	s_delay_alu instid0(VALU_DEP_1) | instskip(NEXT) | instid1(VALU_DEP_1)
	v_fmac_f32_e32 v10, v11, v8
	v_fma_f32 v7, -v7, v10, v9
	s_delay_alu instid0(VALU_DEP_1) | instskip(NEXT) | instid1(VALU_DEP_1)
	v_div_fmas_f32 v7, v7, v8, v10
	v_div_fixup_f32 v6, v7, s5, v6
	s_delay_alu instid0(VALU_DEP_1) | instskip(NEXT) | instid1(VALU_DEP_1)
	v_mul_f32_e32 v6, 0x45000000, v6
	v_cvt_i32_f32_e32 v6, v6
	s_delay_alu instid0(VALU_DEP_1) | instskip(NEXT) | instid1(VALU_DEP_1)
	v_med3_i32 v6, v6, 0, 0x7ff
	v_lshlrev_b32_e32 v6, 2, v6
	ds_add_rtn_u32 v6, v6, v2
	s_wait_dscnt 0x0
	v_cmp_gt_i32_e32 vcc_lo, s11, v6
	s_and_b32 exec_lo, exec_lo, vcc_lo
	s_cbranch_execz .LBB1_13
; %bb.16:                               ;   in Loop: Header=BB1_14 Depth=1
	s_mov_b32 s7, exec_lo
	global_store_b32 v6, v0, s[2:3] scale_offset
	v_mbcnt_lo_u32_b32 v7, s7, 0
	s_delay_alu instid0(VALU_DEP_1)
	v_cmp_eq_u32_e32 vcc_lo, 0, v7
	s_and_b32 s8, exec_lo, vcc_lo
	s_wait_xcnt 0x0
	s_mov_b32 exec_lo, s8
	s_cbranch_execz .LBB1_13
; %bb.17:                               ;   in Loop: Header=BB1_14 Depth=1
	s_bcnt1_i32_b32 s7, s7
	s_delay_alu instid0(SALU_CYCLE_1)
	v_mov_b32_e32 v6, s7
	global_atomic_add_u32 v3, v6, s[0:1] scope:SCOPE_DEV
	s_branch .LBB1_13
.LBB1_18:
	s_endpgm
	.section	.rodata,"a",@progbits
	.p2align	6, 0x0
	.amdhsa_kernel _Z8findTopKIfLi2048ELi256ELi32EEvPiS0_PKT_fimm
		.amdhsa_group_segment_fixed_size 8192
		.amdhsa_private_segment_fixed_size 0
		.amdhsa_kernarg_size 48
		.amdhsa_user_sgpr_count 2
		.amdhsa_user_sgpr_dispatch_ptr 0
		.amdhsa_user_sgpr_queue_ptr 0
		.amdhsa_user_sgpr_kernarg_segment_ptr 1
		.amdhsa_user_sgpr_dispatch_id 0
		.amdhsa_user_sgpr_kernarg_preload_length 0
		.amdhsa_user_sgpr_kernarg_preload_offset 0
		.amdhsa_user_sgpr_private_segment_size 0
		.amdhsa_wavefront_size32 1
		.amdhsa_uses_dynamic_stack 0
		.amdhsa_enable_private_segment 0
		.amdhsa_system_sgpr_workgroup_id_x 1
		.amdhsa_system_sgpr_workgroup_id_y 1
		.amdhsa_system_sgpr_workgroup_id_z 0
		.amdhsa_system_sgpr_workgroup_info 0
		.amdhsa_system_vgpr_workitem_id 0
		.amdhsa_next_free_vgpr 20
		.amdhsa_next_free_sgpr 26
		.amdhsa_named_barrier_count 0
		.amdhsa_reserve_vcc 1
		.amdhsa_float_round_mode_32 0
		.amdhsa_float_round_mode_16_64 0
		.amdhsa_float_denorm_mode_32 3
		.amdhsa_float_denorm_mode_16_64 3
		.amdhsa_fp16_overflow 0
		.amdhsa_memory_ordered 1
		.amdhsa_forward_progress 1
		.amdhsa_inst_pref_size 14
		.amdhsa_round_robin_scheduling 0
		.amdhsa_exception_fp_ieee_invalid_op 0
		.amdhsa_exception_fp_denorm_src 0
		.amdhsa_exception_fp_ieee_div_zero 0
		.amdhsa_exception_fp_ieee_overflow 0
		.amdhsa_exception_fp_ieee_underflow 0
		.amdhsa_exception_fp_ieee_inexact 0
		.amdhsa_exception_int_div_zero 0
	.end_amdhsa_kernel
	.section	.text._Z8findTopKIfLi2048ELi256ELi32EEvPiS0_PKT_fimm,"axG",@progbits,_Z8findTopKIfLi2048ELi256ELi32EEvPiS0_PKT_fimm,comdat
.Lfunc_end1:
	.size	_Z8findTopKIfLi2048ELi256ELi32EEvPiS0_PKT_fimm, .Lfunc_end1-_Z8findTopKIfLi2048ELi256ELi32EEvPiS0_PKT_fimm
                                        ; -- End function
	.set _Z8findTopKIfLi2048ELi256ELi32EEvPiS0_PKT_fimm.num_vgpr, 20
	.set _Z8findTopKIfLi2048ELi256ELi32EEvPiS0_PKT_fimm.num_agpr, 0
	.set _Z8findTopKIfLi2048ELi256ELi32EEvPiS0_PKT_fimm.numbered_sgpr, 26
	.set _Z8findTopKIfLi2048ELi256ELi32EEvPiS0_PKT_fimm.num_named_barrier, 0
	.set _Z8findTopKIfLi2048ELi256ELi32EEvPiS0_PKT_fimm.private_seg_size, 0
	.set _Z8findTopKIfLi2048ELi256ELi32EEvPiS0_PKT_fimm.uses_vcc, 1
	.set _Z8findTopKIfLi2048ELi256ELi32EEvPiS0_PKT_fimm.uses_flat_scratch, 0
	.set _Z8findTopKIfLi2048ELi256ELi32EEvPiS0_PKT_fimm.has_dyn_sized_stack, 0
	.set _Z8findTopKIfLi2048ELi256ELi32EEvPiS0_PKT_fimm.has_recursion, 0
	.set _Z8findTopKIfLi2048ELi256ELi32EEvPiS0_PKT_fimm.has_indirect_call, 0
	.section	.AMDGPU.csdata,"",@progbits
; Kernel info:
; codeLenInByte = 1736
; TotalNumSgprs: 28
; NumVgprs: 20
; ScratchSize: 0
; MemoryBound: 0
; FloatMode: 240
; IeeeMode: 1
; LDSByteSize: 8192 bytes/workgroup (compile time only)
; SGPRBlocks: 0
; VGPRBlocks: 1
; NumSGPRsForWavesPerEU: 28
; NumVGPRsForWavesPerEU: 20
; NamedBarCnt: 0
; Occupancy: 16
; WaveLimiterHint : 0
; COMPUTE_PGM_RSRC2:SCRATCH_EN: 0
; COMPUTE_PGM_RSRC2:USER_SGPR: 2
; COMPUTE_PGM_RSRC2:TRAP_HANDLER: 0
; COMPUTE_PGM_RSRC2:TGID_X_EN: 1
; COMPUTE_PGM_RSRC2:TGID_Y_EN: 1
; COMPUTE_PGM_RSRC2:TGID_Z_EN: 0
; COMPUTE_PGM_RSRC2:TIDIG_COMP_CNT: 0
	.section	.AMDGPU.gpr_maximums,"",@progbits
	.set amdgpu.max_num_vgpr, 0
	.set amdgpu.max_num_agpr, 0
	.set amdgpu.max_num_sgpr, 0
	.section	.AMDGPU.csdata,"",@progbits
	.type	__hip_cuid_fe342a56926b4c41,@object ; @__hip_cuid_fe342a56926b4c41
	.section	.bss,"aw",@nobits
	.globl	__hip_cuid_fe342a56926b4c41
__hip_cuid_fe342a56926b4c41:
	.byte	0                               ; 0x0
	.size	__hip_cuid_fe342a56926b4c41, 1

	.ident	"AMD clang version 22.0.0git (https://github.com/RadeonOpenCompute/llvm-project roc-7.2.4 26084 f58b06dce1f9c15707c5f808fd002e18c2accf7e)"
	.section	".note.GNU-stack","",@progbits
	.addrsig
	.addrsig_sym __hip_cuid_fe342a56926b4c41
	.amdgpu_metadata
---
amdhsa.kernels:
  - .args:
      - .actual_access:  write_only
        .address_space:  global
        .offset:         0
        .size:           8
        .value_kind:     global_buffer
      - .address_space:  global
        .offset:         8
        .size:           8
        .value_kind:     global_buffer
      - .actual_access:  read_only
        .address_space:  global
        .offset:         16
        .size:           8
        .value_kind:     global_buffer
      - .offset:         24
        .size:           4
        .value_kind:     by_value
      - .offset:         28
        .size:           4
        .value_kind:     by_value
      - .offset:         32
        .size:           8
        .value_kind:     by_value
      - .offset:         40
        .size:           8
        .value_kind:     by_value
    .group_segment_fixed_size: 8192
    .kernarg_segment_align: 8
    .kernarg_segment_size: 48
    .language:       OpenCL C
    .language_version:
      - 2
      - 0
    .max_flat_workgroup_size: 256
    .name:           _Z8findTopKIfLi2048ELi256ELi64EEvPiS0_PKT_fimm
    .private_segment_fixed_size: 0
    .sgpr_count:     29
    .sgpr_spill_count: 0
    .symbol:         _Z8findTopKIfLi2048ELi256ELi64EEvPiS0_PKT_fimm.kd
    .uniform_work_group_size: 1
    .uses_dynamic_stack: false
    .vgpr_count:     21
    .vgpr_spill_count: 0
    .wavefront_size: 32
  - .args:
      - .actual_access:  write_only
        .address_space:  global
        .offset:         0
        .size:           8
        .value_kind:     global_buffer
      - .address_space:  global
        .offset:         8
        .size:           8
        .value_kind:     global_buffer
      - .actual_access:  read_only
        .address_space:  global
        .offset:         16
        .size:           8
        .value_kind:     global_buffer
      - .offset:         24
        .size:           4
        .value_kind:     by_value
      - .offset:         28
        .size:           4
        .value_kind:     by_value
      - .offset:         32
        .size:           8
        .value_kind:     by_value
      - .offset:         40
        .size:           8
        .value_kind:     by_value
    .group_segment_fixed_size: 8192
    .kernarg_segment_align: 8
    .kernarg_segment_size: 48
    .language:       OpenCL C
    .language_version:
      - 2
      - 0
    .max_flat_workgroup_size: 256
    .name:           _Z8findTopKIfLi2048ELi256ELi32EEvPiS0_PKT_fimm
    .private_segment_fixed_size: 0
    .sgpr_count:     28
    .sgpr_spill_count: 0
    .symbol:         _Z8findTopKIfLi2048ELi256ELi32EEvPiS0_PKT_fimm.kd
    .uniform_work_group_size: 1
    .uses_dynamic_stack: false
    .vgpr_count:     20
    .vgpr_spill_count: 0
    .wavefront_size: 32
amdhsa.target:   amdgcn-amd-amdhsa--gfx1250
amdhsa.version:
  - 1
  - 2
...

	.end_amdgpu_metadata
